;; amdgpu-corpus repo=zjin-lcf/HeCBench kind=compiled arch=gfx906 opt=O3
	.amdgcn_target "amdgcn-amd-amdhsa--gfx906"
	.amdhsa_code_object_version 6
	.text
	.protected	_Z14CalculateRangePK10ProjectilePS_ ; -- Begin function _Z14CalculateRangePK10ProjectilePS_
	.globl	_Z14CalculateRangePK10ProjectilePS_
	.p2align	8
	.type	_Z14CalculateRangePK10ProjectilePS_,@function
_Z14CalculateRangePK10ProjectilePS_:    ; @_Z14CalculateRangePK10ProjectilePS_
; %bb.0:
	s_load_dword s0, s[4:5], 0x1c
	s_waitcnt lgkmcnt(0)
	s_and_b32 s0, s0, 0xffff
	s_mul_i32 s6, s6, s0
	v_add_u32_e32 v4, s6, v0
	s_mov_b32 s0, 0x989680
	v_cmp_gt_i32_e32 vcc, s0, v4
	s_and_saveexec_b64 s[0:1], vcc
	s_cbranch_execz .LBB0_10
; %bb.1:
	s_load_dwordx4 s[4:7], s[4:5], 0x0
	s_mov_b32 s2, 0x43340000
	s_waitcnt lgkmcnt(0)
	v_mov_b32_e32 v0, s4
	v_mov_b32_e32 v1, s5
	v_mad_i64_i32 v[0:1], s[0:1], v4, 20, v[0:1]
	global_load_dwordx2 v[0:1], v[0:1], off
	s_waitcnt vmcnt(0)
	v_mul_f32_e32 v2, 0x40490e56, v0
	v_div_scale_f32 v3, s[0:1], s2, s2, v2
	v_div_scale_f32 v5, vcc, v2, s2, v2
	s_brev_b32 s0, 18
	v_rcp_f32_e32 v6, v3
	v_fma_f32 v7, -v3, v6, 1.0
	v_fmac_f32_e32 v6, v7, v6
	v_mul_f32_e32 v7, v5, v6
	v_fma_f32 v8, -v3, v7, v5
	v_fmac_f32_e32 v7, v8, v6
	v_fma_f32 v3, -v3, v7, v5
	v_div_fmas_f32 v3, v3, v6, v7
                                        ; implicit-def: $vgpr5
                                        ; implicit-def: $vgpr6
	v_div_fixup_f32 v2, v3, s2, v2
	v_and_b32_e32 v3, 0x7fffffff, v2
	v_cmp_nlt_f32_e64 s[8:9], |v2|, s0
	v_lshrrev_b32_e32 v7, 23, v3
	s_and_saveexec_b64 s[0:1], s[8:9]
	s_xor_b64 s[10:11], exec, s[0:1]
	s_cbranch_execz .LBB0_3
; %bb.2:
	v_and_b32_e32 v5, 0x7fffff, v3
	v_or_b32_e32 v16, 0x800000, v5
	s_mov_b32 s0, 0xfe5163ab
	v_mad_u64_u32 v[5:6], s[0:1], v16, s0, 0
	v_mov_b32_e32 v9, 0
	s_mov_b32 s0, 0x3c439041
	v_mov_b32_e32 v8, v6
	v_mad_u64_u32 v[10:11], s[0:1], v16, s0, v[8:9]
	s_mov_b32 s0, 0xdb629599
	v_add_u32_e32 v6, 0xffffff88, v7
	v_mov_b32_e32 v8, v11
	v_mad_u64_u32 v[11:12], s[0:1], v16, s0, v[8:9]
	s_mov_b32 s0, 0xf534ddc0
	v_not_b32_e32 v15, 63
	v_mov_b32_e32 v8, v12
	v_mad_u64_u32 v[12:13], s[0:1], v16, s0, v[8:9]
	s_mov_b32 s0, 0xfc2757d1
	v_cmp_lt_u32_e32 vcc, 63, v6
	v_mov_b32_e32 v8, v13
	v_mad_u64_u32 v[13:14], s[0:1], v16, s0, v[8:9]
	v_cndmask_b32_e32 v8, 0, v15, vcc
	v_add_u32_e32 v6, v8, v6
	v_mov_b32_e32 v8, v14
	s_mov_b32 s0, 0x4e441529
	v_mad_u64_u32 v[14:15], s[0:1], v16, s0, v[8:9]
	v_not_b32_e32 v17, 31
	v_cmp_lt_u32_e64 s[0:1], 31, v6
	v_cndmask_b32_e64 v8, 0, v17, s[0:1]
	v_add_u32_e32 v6, v8, v6
	v_mov_b32_e32 v8, v15
	s_mov_b32 s2, 0xa2f9836e
	v_mad_u64_u32 v[8:9], s[2:3], v16, s2, v[8:9]
	v_cmp_lt_u32_e64 s[2:3], 31, v6
	v_cndmask_b32_e64 v15, 0, v17, s[2:3]
	v_add_u32_e32 v6, v15, v6
	v_cndmask_b32_e32 v15, v14, v12, vcc
	v_cndmask_b32_e32 v8, v8, v13, vcc
	;; [unrolled: 1-line block ×3, first 2 shown]
	v_cndmask_b32_e64 v16, v8, v15, s[0:1]
	v_cndmask_b32_e64 v8, v9, v8, s[0:1]
	v_cndmask_b32_e32 v9, v13, v11, vcc
	v_cndmask_b32_e64 v13, v15, v9, s[0:1]
	v_sub_u32_e32 v15, 32, v6
	v_cmp_eq_u32_e64 s[4:5], 0, v6
	v_cndmask_b32_e32 v6, v12, v10, vcc
	v_cndmask_b32_e64 v8, v8, v16, s[2:3]
	v_cndmask_b32_e64 v14, v16, v13, s[2:3]
	;; [unrolled: 1-line block ×3, first 2 shown]
	v_alignbit_b32 v16, v8, v14, v15
	v_cndmask_b32_e64 v10, v13, v9, s[2:3]
	v_cndmask_b32_e64 v8, v16, v8, s[4:5]
	v_alignbit_b32 v12, v14, v10, v15
	v_cndmask_b32_e32 v5, v11, v5, vcc
	v_cndmask_b32_e64 v12, v12, v14, s[4:5]
	v_bfe_u32 v16, v8, 29, 1
	v_cndmask_b32_e64 v5, v6, v5, s[0:1]
	v_alignbit_b32 v13, v8, v12, 30
	v_sub_u32_e32 v17, 0, v16
	v_cndmask_b32_e64 v5, v9, v5, s[2:3]
	v_xor_b32_e32 v13, v13, v17
	v_alignbit_b32 v6, v10, v5, v15
	v_cndmask_b32_e64 v6, v6, v10, s[4:5]
	v_ffbh_u32_e32 v10, v13
	v_alignbit_b32 v9, v12, v6, 30
	v_min_u32_e32 v10, 32, v10
	v_alignbit_b32 v5, v6, v5, 30
	v_xor_b32_e32 v9, v9, v17
	v_sub_u32_e32 v11, 31, v10
	v_xor_b32_e32 v5, v5, v17
	v_alignbit_b32 v12, v13, v9, v11
	v_alignbit_b32 v5, v9, v5, v11
	;; [unrolled: 1-line block ×3, first 2 shown]
	v_ffbh_u32_e32 v9, v6
	v_min_u32_e32 v9, 32, v9
	v_lshrrev_b32_e32 v14, 29, v8
	v_not_b32_e32 v11, v9
	v_alignbit_b32 v5, v6, v5, v11
	v_lshlrev_b32_e32 v6, 31, v14
	v_or_b32_e32 v11, 0x33000000, v6
	v_add_lshl_u32 v9, v9, v10, 23
	v_lshrrev_b32_e32 v5, 9, v5
	v_sub_u32_e32 v9, v11, v9
	v_or_b32_e32 v6, 0.5, v6
	v_lshlrev_b32_e32 v10, 23, v10
	v_or_b32_e32 v5, v9, v5
	v_lshrrev_b32_e32 v9, 9, v12
	v_sub_u32_e32 v6, v6, v10
	v_or_b32_e32 v6, v9, v6
	s_mov_b32 s0, 0x3fc90fda
	v_mul_f32_e32 v9, 0x3fc90fda, v6
	v_fma_f32 v10, v6, s0, -v9
	v_fmac_f32_e32 v10, 0x33a22168, v6
	v_fmac_f32_e32 v10, 0x3fc90fda, v5
	v_lshrrev_b32_e32 v5, 30, v8
	v_add_f32_e32 v6, v9, v10
	v_add_u32_e32 v5, v16, v5
	s_andn2_saveexec_b64 s[0:1], s[10:11]
	s_cbranch_execz .LBB0_5
	s_branch .LBB0_4
.LBB0_3:
	s_andn2_saveexec_b64 s[0:1], s[10:11]
	s_cbranch_execz .LBB0_5
.LBB0_4:
	s_mov_b32 s2, 0x3f22f983
	v_mul_f32_e64 v5, |v2|, s2
	v_rndne_f32_e32 v8, v5
	s_mov_b32 s2, 0xbfc90fda
	v_cvt_i32_f32_e32 v5, v8
	v_fma_f32 v6, v8, s2, |v2|
	v_fmac_f32_e32 v6, 0xb3a22168, v8
	v_fmac_f32_e32 v6, 0xa7c234c4, v8
.LBB0_5:
	s_or_b64 exec, exec, s[0:1]
                                        ; implicit-def: $vgpr8
                                        ; implicit-def: $vgpr9
	s_and_saveexec_b64 s[0:1], s[8:9]
	s_xor_b64 s[8:9], exec, s[0:1]
	s_cbranch_execz .LBB0_7
; %bb.6:
	v_and_b32_e32 v8, 0x7fffff, v3
	v_or_b32_e32 v17, 0x800000, v8
	s_mov_b32 s0, 0xfe5163ab
	v_mad_u64_u32 v[8:9], s[0:1], v17, s0, 0
	v_mov_b32_e32 v10, 0
	s_mov_b32 s0, 0x3c439041
	v_mad_u64_u32 v[11:12], s[0:1], v17, s0, v[9:10]
	s_mov_b32 s0, 0xdb629599
	v_add_u32_e32 v7, 0xffffff88, v7
	v_mov_b32_e32 v9, v12
	v_mad_u64_u32 v[12:13], s[0:1], v17, s0, v[9:10]
	s_mov_b32 s0, 0xf534ddc0
	v_not_b32_e32 v16, 63
	v_mov_b32_e32 v9, v13
	v_mad_u64_u32 v[13:14], s[0:1], v17, s0, v[9:10]
	s_mov_b32 s0, 0xfc2757d1
	v_cmp_lt_u32_e32 vcc, 63, v7
	v_mov_b32_e32 v9, v14
	v_mad_u64_u32 v[14:15], s[0:1], v17, s0, v[9:10]
	v_cndmask_b32_e32 v9, 0, v16, vcc
	v_add_u32_e32 v7, v9, v7
	v_mov_b32_e32 v9, v15
	s_mov_b32 s0, 0x4e441529
	v_mad_u64_u32 v[15:16], s[0:1], v17, s0, v[9:10]
	v_not_b32_e32 v18, 31
	v_cmp_lt_u32_e64 s[0:1], 31, v7
	v_cndmask_b32_e64 v9, 0, v18, s[0:1]
	v_add_u32_e32 v7, v9, v7
	v_mov_b32_e32 v9, v16
	s_mov_b32 s2, 0xa2f9836e
	v_mad_u64_u32 v[9:10], s[2:3], v17, s2, v[9:10]
	v_cmp_lt_u32_e64 s[2:3], 31, v7
	v_cndmask_b32_e64 v16, 0, v18, s[2:3]
	v_add_u32_e32 v7, v16, v7
	v_cndmask_b32_e32 v16, v15, v13, vcc
	v_cndmask_b32_e32 v9, v9, v14, vcc
	;; [unrolled: 1-line block ×3, first 2 shown]
	v_cndmask_b32_e64 v17, v9, v16, s[0:1]
	v_cndmask_b32_e64 v9, v10, v9, s[0:1]
	v_cndmask_b32_e32 v10, v14, v12, vcc
	v_cndmask_b32_e64 v14, v16, v10, s[0:1]
	v_cndmask_b32_e64 v9, v9, v17, s[2:3]
	;; [unrolled: 1-line block ×3, first 2 shown]
	v_sub_u32_e32 v16, 32, v7
	v_alignbit_b32 v17, v9, v15, v16
	v_cmp_eq_u32_e64 s[4:5], 0, v7
	v_cndmask_b32_e64 v7, v17, v9, s[4:5]
	v_cndmask_b32_e32 v9, v13, v11, vcc
	v_cndmask_b32_e64 v10, v10, v9, s[0:1]
	v_cndmask_b32_e64 v11, v14, v10, s[2:3]
	v_alignbit_b32 v13, v15, v11, v16
	v_cndmask_b32_e32 v8, v12, v8, vcc
	v_cndmask_b32_e64 v13, v13, v15, s[4:5]
	v_bfe_u32 v17, v7, 29, 1
	v_cndmask_b32_e64 v8, v9, v8, s[0:1]
	v_alignbit_b32 v14, v7, v13, 30
	v_sub_u32_e32 v18, 0, v17
	v_cndmask_b32_e64 v8, v10, v8, s[2:3]
	v_xor_b32_e32 v14, v14, v18
	v_alignbit_b32 v9, v11, v8, v16
	v_cndmask_b32_e64 v9, v9, v11, s[4:5]
	v_ffbh_u32_e32 v11, v14
	v_alignbit_b32 v10, v13, v9, 30
	v_min_u32_e32 v11, 32, v11
	v_alignbit_b32 v8, v9, v8, 30
	v_xor_b32_e32 v10, v10, v18
	v_sub_u32_e32 v12, 31, v11
	v_xor_b32_e32 v8, v8, v18
	v_alignbit_b32 v13, v14, v10, v12
	v_alignbit_b32 v8, v10, v8, v12
	;; [unrolled: 1-line block ×3, first 2 shown]
	v_ffbh_u32_e32 v10, v9
	v_min_u32_e32 v10, 32, v10
	v_lshrrev_b32_e32 v15, 29, v7
	v_not_b32_e32 v12, v10
	v_alignbit_b32 v8, v9, v8, v12
	v_lshlrev_b32_e32 v9, 31, v15
	v_or_b32_e32 v12, 0x33000000, v9
	v_add_lshl_u32 v10, v10, v11, 23
	v_lshrrev_b32_e32 v8, 9, v8
	v_sub_u32_e32 v10, v12, v10
	v_or_b32_e32 v9, 0.5, v9
	v_lshlrev_b32_e32 v11, 23, v11
	v_or_b32_e32 v8, v10, v8
	v_lshrrev_b32_e32 v10, 9, v13
	v_sub_u32_e32 v9, v9, v11
	v_or_b32_e32 v9, v10, v9
	s_mov_b32 s0, 0x3fc90fda
	v_mul_f32_e32 v10, 0x3fc90fda, v9
	v_fma_f32 v11, v9, s0, -v10
	v_fmac_f32_e32 v11, 0x33a22168, v9
	v_fmac_f32_e32 v11, 0x3fc90fda, v8
	v_lshrrev_b32_e32 v7, 30, v7
	v_add_f32_e32 v9, v10, v11
	v_add_u32_e32 v8, v17, v7
	s_andn2_saveexec_b64 s[0:1], s[8:9]
	s_cbranch_execnz .LBB0_8
	s_branch .LBB0_9
.LBB0_7:
	s_andn2_saveexec_b64 s[0:1], s[8:9]
	s_cbranch_execz .LBB0_9
.LBB0_8:
	s_mov_b32 s2, 0x3f22f983
	v_mul_f32_e64 v7, |v2|, s2
	v_rndne_f32_e32 v7, v7
	s_mov_b32 s2, 0xbfc90fda
	v_cvt_i32_f32_e32 v8, v7
	v_fma_f32 v9, v7, s2, |v2|
	v_fmac_f32_e32 v9, 0xb3a22168, v7
	v_fmac_f32_e32 v9, 0xa7c234c4, v7
.LBB0_9:
	s_or_b64 exec, exec, s[0:1]
	v_mul_f32_e32 v7, v6, v6
	v_mov_b32_e32 v10, 0x3c0881c4
	v_fmac_f32_e32 v10, 0xb94c1982, v7
	v_mov_b32_e32 v11, 0xbe2aaa9d
	v_fma_f32 v10, v7, v10, v11
	v_mul_f32_e32 v10, v7, v10
	v_fmac_f32_e32 v6, v6, v10
	v_mov_b32_e32 v10, 0xbab64f3b
	v_fmac_f32_e32 v10, 0x37d75334, v7
	v_mov_b32_e32 v12, 0x3d2aabf7
	v_fma_f32 v10, v7, v10, v12
	v_mov_b32_e32 v13, 0xbf000004
	v_fma_f32 v10, v7, v10, v13
	v_fma_f32 v7, v7, v10, 1.0
	v_and_b32_e32 v10, 1, v5
	v_lshlrev_b32_e32 v5, 30, v5
	v_cmp_eq_u32_e32 vcc, 0, v10
	v_and_b32_e32 v5, 0x80000000, v5
	v_xor_b32_e32 v3, v3, v2
	v_cndmask_b32_e32 v6, v7, v6, vcc
	v_xor_b32_e32 v3, v3, v5
	s_movk_i32 s0, 0x1f8
	v_xor_b32_e32 v3, v3, v6
	v_mov_b32_e32 v7, 0x7fc00000
	v_cmp_class_f32_e64 s[0:1], v2, s0
	v_cndmask_b32_e64 v10, v7, v3, s[0:1]
	v_add_f32_e32 v2, v1, v1
	v_mul_f32_e32 v2, v2, v10
	v_and_b32_e32 v3, 0x7fffffff, v2
	s_mov_b32 s4, 0x411cf5c3
	v_div_scale_f32 v5, s[2:3], s4, s4, v3
	v_div_scale_f32 v3, vcc, v3, s4, v3
	v_mov_b32_e32 v15, 0x3c0881c4
	v_mov_b32_e32 v16, 0xbab64f3b
	v_rcp_f32_e32 v14, v5
	v_fma_f32 v6, -v5, v14, 1.0
	v_fmac_f32_e32 v14, v6, v14
	v_mul_f32_e32 v17, v3, v14
	v_fma_f32 v6, -v5, v17, v3
	v_fmac_f32_e32 v17, v6, v14
	v_fma_f32 v3, -v5, v17, v3
	v_div_fmas_f32 v3, v3, v14, v17
	v_mul_f32_e32 v14, v9, v9
	v_fmac_f32_e32 v15, 0xb94c1982, v14
	v_fmac_f32_e32 v16, 0x37d75334, v14
	;; [unrolled: 1-line block ×4, first 2 shown]
	v_mul_f32_e32 v11, v14, v11
	v_fmac_f32_e32 v13, v14, v12
	v_and_b32_e32 v12, 1, v8
	v_fmac_f32_e32 v9, v9, v11
	v_fma_f32 v11, v14, v13, 1.0
	v_cmp_eq_u32_e32 vcc, 0, v12
	v_lshlrev_b32_e32 v8, 30, v8
	v_cndmask_b32_e64 v9, -v9, v11, vcc
	v_and_b32_e32 v8, 0x80000000, v8
	v_xor_b32_e32 v8, v8, v9
	v_div_fixup_f32 v3, v3, s4, |v2|
	v_mov_b32_e32 v5, s6
	v_mov_b32_e32 v6, s7
	v_cndmask_b32_e64 v7, v7, v8, s[0:1]
	v_mul_f32_e32 v2, v1, v3
	v_mul_f32_e32 v2, v2, v7
	;; [unrolled: 1-line block ×3, first 2 shown]
	v_mad_i64_i32 v[4:5], s[0:1], v4, 20, v[5:6]
	v_mul_f32_e32 v7, v7, v10
	v_mul_f32_e32 v6, v10, v7
	v_and_b32_e32 v2, 0x7fffffff, v2
	v_mul_f32_e32 v6, 0.5, v6
	v_mul_f32_e32 v6, 0x411cf5c3, v6
	global_store_dwordx4 v[4:5], v[0:3], off
	global_store_dword v[4:5], v6, off offset:16
.LBB0_10:
	s_endpgm
	.section	.rodata,"a",@progbits
	.p2align	6, 0x0
	.amdhsa_kernel _Z14CalculateRangePK10ProjectilePS_
		.amdhsa_group_segment_fixed_size 0
		.amdhsa_private_segment_fixed_size 0
		.amdhsa_kernarg_size 272
		.amdhsa_user_sgpr_count 6
		.amdhsa_user_sgpr_private_segment_buffer 1
		.amdhsa_user_sgpr_dispatch_ptr 0
		.amdhsa_user_sgpr_queue_ptr 0
		.amdhsa_user_sgpr_kernarg_segment_ptr 1
		.amdhsa_user_sgpr_dispatch_id 0
		.amdhsa_user_sgpr_flat_scratch_init 0
		.amdhsa_user_sgpr_private_segment_size 0
		.amdhsa_uses_dynamic_stack 0
		.amdhsa_system_sgpr_private_segment_wavefront_offset 0
		.amdhsa_system_sgpr_workgroup_id_x 1
		.amdhsa_system_sgpr_workgroup_id_y 0
		.amdhsa_system_sgpr_workgroup_id_z 0
		.amdhsa_system_sgpr_workgroup_info 0
		.amdhsa_system_vgpr_workitem_id 0
		.amdhsa_next_free_vgpr 19
		.amdhsa_next_free_sgpr 12
		.amdhsa_reserve_vcc 1
		.amdhsa_reserve_flat_scratch 0
		.amdhsa_float_round_mode_32 0
		.amdhsa_float_round_mode_16_64 0
		.amdhsa_float_denorm_mode_32 3
		.amdhsa_float_denorm_mode_16_64 3
		.amdhsa_dx10_clamp 1
		.amdhsa_ieee_mode 1
		.amdhsa_fp16_overflow 0
		.amdhsa_exception_fp_ieee_invalid_op 0
		.amdhsa_exception_fp_denorm_src 0
		.amdhsa_exception_fp_ieee_div_zero 0
		.amdhsa_exception_fp_ieee_overflow 0
		.amdhsa_exception_fp_ieee_underflow 0
		.amdhsa_exception_fp_ieee_inexact 0
		.amdhsa_exception_int_div_zero 0
	.end_amdhsa_kernel
	.text
.Lfunc_end0:
	.size	_Z14CalculateRangePK10ProjectilePS_, .Lfunc_end0-_Z14CalculateRangePK10ProjectilePS_
                                        ; -- End function
	.set _Z14CalculateRangePK10ProjectilePS_.num_vgpr, 19
	.set _Z14CalculateRangePK10ProjectilePS_.num_agpr, 0
	.set _Z14CalculateRangePK10ProjectilePS_.numbered_sgpr, 12
	.set _Z14CalculateRangePK10ProjectilePS_.num_named_barrier, 0
	.set _Z14CalculateRangePK10ProjectilePS_.private_seg_size, 0
	.set _Z14CalculateRangePK10ProjectilePS_.uses_vcc, 1
	.set _Z14CalculateRangePK10ProjectilePS_.uses_flat_scratch, 0
	.set _Z14CalculateRangePK10ProjectilePS_.has_dyn_sized_stack, 0
	.set _Z14CalculateRangePK10ProjectilePS_.has_recursion, 0
	.set _Z14CalculateRangePK10ProjectilePS_.has_indirect_call, 0
	.section	.AMDGPU.csdata,"",@progbits
; Kernel info:
; codeLenInByte = 2004
; TotalNumSgprs: 16
; NumVgprs: 19
; ScratchSize: 0
; MemoryBound: 0
; FloatMode: 240
; IeeeMode: 1
; LDSByteSize: 0 bytes/workgroup (compile time only)
; SGPRBlocks: 1
; VGPRBlocks: 4
; NumSGPRsForWavesPerEU: 16
; NumVGPRsForWavesPerEU: 19
; Occupancy: 10
; WaveLimiterHint : 0
; COMPUTE_PGM_RSRC2:SCRATCH_EN: 0
; COMPUTE_PGM_RSRC2:USER_SGPR: 6
; COMPUTE_PGM_RSRC2:TRAP_HANDLER: 0
; COMPUTE_PGM_RSRC2:TGID_X_EN: 1
; COMPUTE_PGM_RSRC2:TGID_Y_EN: 0
; COMPUTE_PGM_RSRC2:TGID_Z_EN: 0
; COMPUTE_PGM_RSRC2:TIDIG_COMP_CNT: 0
	.section	.AMDGPU.gpr_maximums,"",@progbits
	.set amdgpu.max_num_vgpr, 0
	.set amdgpu.max_num_agpr, 0
	.set amdgpu.max_num_sgpr, 0
	.section	.AMDGPU.csdata,"",@progbits
	.type	__hip_cuid_1af04dc26ec6ae8d,@object ; @__hip_cuid_1af04dc26ec6ae8d
	.section	.bss,"aw",@nobits
	.globl	__hip_cuid_1af04dc26ec6ae8d
__hip_cuid_1af04dc26ec6ae8d:
	.byte	0                               ; 0x0
	.size	__hip_cuid_1af04dc26ec6ae8d, 1

	.ident	"AMD clang version 22.0.0git (https://github.com/RadeonOpenCompute/llvm-project roc-7.2.4 26084 f58b06dce1f9c15707c5f808fd002e18c2accf7e)"
	.section	".note.GNU-stack","",@progbits
	.addrsig
	.addrsig_sym __hip_cuid_1af04dc26ec6ae8d
	.amdgpu_metadata
---
amdhsa.kernels:
  - .args:
      - .address_space:  global
        .offset:         0
        .size:           8
        .value_kind:     global_buffer
      - .address_space:  global
        .offset:         8
        .size:           8
        .value_kind:     global_buffer
      - .offset:         16
        .size:           4
        .value_kind:     hidden_block_count_x
      - .offset:         20
        .size:           4
        .value_kind:     hidden_block_count_y
      - .offset:         24
        .size:           4
        .value_kind:     hidden_block_count_z
      - .offset:         28
        .size:           2
        .value_kind:     hidden_group_size_x
      - .offset:         30
        .size:           2
        .value_kind:     hidden_group_size_y
      - .offset:         32
        .size:           2
        .value_kind:     hidden_group_size_z
      - .offset:         34
        .size:           2
        .value_kind:     hidden_remainder_x
      - .offset:         36
        .size:           2
        .value_kind:     hidden_remainder_y
      - .offset:         38
        .size:           2
        .value_kind:     hidden_remainder_z
      - .offset:         56
        .size:           8
        .value_kind:     hidden_global_offset_x
      - .offset:         64
        .size:           8
        .value_kind:     hidden_global_offset_y
      - .offset:         72
        .size:           8
        .value_kind:     hidden_global_offset_z
      - .offset:         80
        .size:           2
        .value_kind:     hidden_grid_dims
    .group_segment_fixed_size: 0
    .kernarg_segment_align: 8
    .kernarg_segment_size: 272
    .language:       OpenCL C
    .language_version:
      - 2
      - 0
    .max_flat_workgroup_size: 1024
    .name:           _Z14CalculateRangePK10ProjectilePS_
    .private_segment_fixed_size: 0
    .sgpr_count:     16
    .sgpr_spill_count: 0
    .symbol:         _Z14CalculateRangePK10ProjectilePS_.kd
    .uniform_work_group_size: 1
    .uses_dynamic_stack: false
    .vgpr_count:     19
    .vgpr_spill_count: 0
    .wavefront_size: 64
amdhsa.target:   amdgcn-amd-amdhsa--gfx906
amdhsa.version:
  - 1
  - 2
...

	.end_amdgpu_metadata
